;; amdgpu-corpus repo=ggml-org/llama.cpp kind=compiled arch=gfx906 opt=O3
	.amdgcn_target "amdgcn-amd-amdhsa--gfx906"
	.amdhsa_code_object_version 6
	.section	.text._ZL24conv_transpose_1d_kerneliiiiiiiiiiiiiiiiPKfS0_Pf,"axG",@progbits,_ZL24conv_transpose_1d_kerneliiiiiiiiiiiiiiiiPKfS0_Pf,comdat
	.globl	_ZL24conv_transpose_1d_kerneliiiiiiiiiiiiiiiiPKfS0_Pf ; -- Begin function _ZL24conv_transpose_1d_kerneliiiiiiiiiiiiiiiiPKfS0_Pf
	.p2align	8
	.type	_ZL24conv_transpose_1d_kerneliiiiiiiiiiiiiiiiPKfS0_Pf,@function
_ZL24conv_transpose_1d_kerneliiiiiiiiiiiiiiiiPKfS0_Pf: ; @_ZL24conv_transpose_1d_kerneliiiiiiiiiiiiiiiiPKfS0_Pf
; %bb.0:
	s_load_dword s0, s[4:5], 0x64
	s_load_dwordx4 s[8:11], s[4:5], 0xc
	s_waitcnt lgkmcnt(0)
	s_and_b32 s0, s0, 0xffff
	s_mul_i32 s6, s6, s0
	v_add_u32_e32 v0, s6, v0
	v_cmp_gt_i32_e32 vcc, s8, v0
	s_and_saveexec_b64 s[0:1], vcc
	s_cbranch_execz .LBB0_11
; %bb.1:
	s_load_dwordx4 s[12:15], s[4:5], 0x40
	s_load_dwordx2 s[6:7], s[4:5], 0x50
	s_cmp_lt_i32 s11, 1
	v_ashrrev_i32_e32 v1, 31, v0
	s_cbranch_scc1 .LBB0_9
; %bb.2:
	s_load_dword s2, s[4:5], 0x30
	s_load_dword s8, s[4:5], 0x20
	v_sub_u32_e32 v4, 0, v0
	v_max_i32_e32 v4, v0, v4
	s_load_dword s16, s[4:5], 0x0
	s_waitcnt lgkmcnt(0)
	s_abs_i32 s3, s2
	v_cvt_f32_u32_e32 v2, s3
	s_sub_i32 s0, 0, s3
	s_ashr_i32 s4, s2, 31
	s_cmp_gt_i32 s8, 0
	v_rcp_iflag_f32_e32 v2, v2
	s_mov_b32 s5, 0
	s_mul_i32 s10, s10, s9
	v_mov_b32_e32 v5, 0
	v_mul_f32_e32 v2, 0x4f7ffffe, v2
	v_cvt_u32_f32_e32 v2, v2
	s_mov_b32 s17, 0
	s_mov_b32 s18, 0
	v_mul_lo_u32 v3, s0, v2
	v_mul_hi_u32 v3, v2, v3
	v_add_u32_e32 v2, v2, v3
	v_mad_u64_u32 v[2:3], s[0:1], v4, v2, 0
	v_xor_b32_e32 v2, s4, v1
	s_cselect_b64 s[0:1], -1, 0
	v_mul_lo_u32 v6, v3, s3
	v_add_u32_e32 v8, 1, v3
	s_sub_i32 s4, s9, s2
	v_cndmask_b32_e64 v7, 0, 1, s[0:1]
	v_sub_u32_e32 v4, v4, v6
	v_cmp_le_u32_e32 vcc, s3, v4
	v_subrev_u32_e32 v6, s3, v4
	v_cndmask_b32_e32 v3, v3, v8, vcc
	v_cndmask_b32_e32 v4, v4, v6, vcc
	v_add_u32_e32 v6, 1, v3
	v_cmp_le_u32_e32 vcc, s3, v4
	v_cndmask_b32_e32 v3, v3, v6, vcc
	v_xor_b32_e32 v3, v3, v2
	v_sub_u32_e32 v2, v3, v2
	v_mul_lo_u32 v4, v2, s2
	v_mad_u64_u32 v[2:3], s[0:1], v2, s4, v[0:1]
	v_cmp_ne_u32_e64 s[0:1], 1, v7
	v_sub_u32_e32 v6, v0, v4
	s_branch .LBB0_4
.LBB0_3:                                ;   in Loop: Header=BB0_4 Depth=1
	s_add_i32 s18, s18, 1
	s_add_i32 s17, s17, s8
	s_cmp_eq_u32 s18, s11
	v_add_u32_e32 v2, s10, v2
	s_cbranch_scc1 .LBB0_10
.LBB0_4:                                ; =>This Loop Header: Depth=1
                                        ;     Child Loop BB0_7 Depth 2
	s_and_b64 vcc, exec, s[0:1]
	s_cbranch_vccnz .LBB0_3
; %bb.5:                                ;   in Loop: Header=BB0_4 Depth=1
	s_mov_b32 s19, 0
	v_mov_b32_e32 v3, v2
	s_mov_b32 s4, s17
	s_mov_b32 s20, s8
	s_branch .LBB0_7
.LBB0_6:                                ;   in Loop: Header=BB0_7 Depth=2
	s_or_b64 exec, exec, s[2:3]
	s_add_i32 s20, s20, -1
	s_add_i32 s4, s4, 1
	s_add_i32 s19, s19, s16
	s_cmp_eq_u32 s20, 0
	v_subrev_u32_e32 v3, s16, v3
	s_cbranch_scc1 .LBB0_3
.LBB0_7:                                ;   Parent Loop BB0_4 Depth=1
                                        ; =>  This Inner Loop Header: Depth=2
	s_add_i32 s2, s9, s19
	v_cmp_le_i32_e32 vcc, s19, v6
	v_cmp_gt_i32_e64 s[2:3], s2, v6
	s_and_b64 s[22:23], vcc, s[2:3]
	s_and_saveexec_b64 s[2:3], s[22:23]
	s_cbranch_execz .LBB0_6
; %bb.8:                                ;   in Loop: Header=BB0_7 Depth=2
	v_ashrrev_i32_e32 v4, 31, v3
	v_lshlrev_b64 v[7:8], 2, v[3:4]
	v_mov_b32_e32 v4, s13
	v_add_co_u32_e32 v7, vcc, s12, v7
	v_addc_co_u32_e32 v8, vcc, v4, v8, vcc
	global_load_dword v4, v[7:8], off
	s_lshl_b64 s[22:23], s[4:5], 2
	s_add_u32 s22, s14, s22
	s_addc_u32 s23, s15, s23
	s_load_dword s21, s[22:23], 0x0
	s_waitcnt vmcnt(0) lgkmcnt(0)
	v_fmac_f32_e32 v5, s21, v4
	s_branch .LBB0_6
.LBB0_9:
	v_mov_b32_e32 v5, 0
.LBB0_10:
	v_lshlrev_b64 v[0:1], 2, v[0:1]
	s_waitcnt lgkmcnt(0)
	v_mov_b32_e32 v2, s7
	v_add_co_u32_e32 v0, vcc, s6, v0
	v_addc_co_u32_e32 v1, vcc, v2, v1, vcc
	global_store_dword v[0:1], v5, off
.LBB0_11:
	s_endpgm
	.section	.rodata,"a",@progbits
	.p2align	6, 0x0
	.amdhsa_kernel _ZL24conv_transpose_1d_kerneliiiiiiiiiiiiiiiiPKfS0_Pf
		.amdhsa_group_segment_fixed_size 0
		.amdhsa_private_segment_fixed_size 0
		.amdhsa_kernarg_size 344
		.amdhsa_user_sgpr_count 6
		.amdhsa_user_sgpr_private_segment_buffer 1
		.amdhsa_user_sgpr_dispatch_ptr 0
		.amdhsa_user_sgpr_queue_ptr 0
		.amdhsa_user_sgpr_kernarg_segment_ptr 1
		.amdhsa_user_sgpr_dispatch_id 0
		.amdhsa_user_sgpr_flat_scratch_init 0
		.amdhsa_user_sgpr_private_segment_size 0
		.amdhsa_uses_dynamic_stack 0
		.amdhsa_system_sgpr_private_segment_wavefront_offset 0
		.amdhsa_system_sgpr_workgroup_id_x 1
		.amdhsa_system_sgpr_workgroup_id_y 0
		.amdhsa_system_sgpr_workgroup_id_z 0
		.amdhsa_system_sgpr_workgroup_info 0
		.amdhsa_system_vgpr_workitem_id 0
		.amdhsa_next_free_vgpr 9
		.amdhsa_next_free_sgpr 24
		.amdhsa_reserve_vcc 1
		.amdhsa_reserve_flat_scratch 0
		.amdhsa_float_round_mode_32 0
		.amdhsa_float_round_mode_16_64 0
		.amdhsa_float_denorm_mode_32 3
		.amdhsa_float_denorm_mode_16_64 3
		.amdhsa_dx10_clamp 1
		.amdhsa_ieee_mode 1
		.amdhsa_fp16_overflow 0
		.amdhsa_exception_fp_ieee_invalid_op 0
		.amdhsa_exception_fp_denorm_src 0
		.amdhsa_exception_fp_ieee_div_zero 0
		.amdhsa_exception_fp_ieee_overflow 0
		.amdhsa_exception_fp_ieee_underflow 0
		.amdhsa_exception_fp_ieee_inexact 0
		.amdhsa_exception_int_div_zero 0
	.end_amdhsa_kernel
	.section	.text._ZL24conv_transpose_1d_kerneliiiiiiiiiiiiiiiiPKfS0_Pf,"axG",@progbits,_ZL24conv_transpose_1d_kerneliiiiiiiiiiiiiiiiPKfS0_Pf,comdat
.Lfunc_end0:
	.size	_ZL24conv_transpose_1d_kerneliiiiiiiiiiiiiiiiPKfS0_Pf, .Lfunc_end0-_ZL24conv_transpose_1d_kerneliiiiiiiiiiiiiiiiPKfS0_Pf
                                        ; -- End function
	.set _ZL24conv_transpose_1d_kerneliiiiiiiiiiiiiiiiPKfS0_Pf.num_vgpr, 9
	.set _ZL24conv_transpose_1d_kerneliiiiiiiiiiiiiiiiPKfS0_Pf.num_agpr, 0
	.set _ZL24conv_transpose_1d_kerneliiiiiiiiiiiiiiiiPKfS0_Pf.numbered_sgpr, 24
	.set _ZL24conv_transpose_1d_kerneliiiiiiiiiiiiiiiiPKfS0_Pf.num_named_barrier, 0
	.set _ZL24conv_transpose_1d_kerneliiiiiiiiiiiiiiiiPKfS0_Pf.private_seg_size, 0
	.set _ZL24conv_transpose_1d_kerneliiiiiiiiiiiiiiiiPKfS0_Pf.uses_vcc, 1
	.set _ZL24conv_transpose_1d_kerneliiiiiiiiiiiiiiiiPKfS0_Pf.uses_flat_scratch, 0
	.set _ZL24conv_transpose_1d_kerneliiiiiiiiiiiiiiiiPKfS0_Pf.has_dyn_sized_stack, 0
	.set _ZL24conv_transpose_1d_kerneliiiiiiiiiiiiiiiiPKfS0_Pf.has_recursion, 0
	.set _ZL24conv_transpose_1d_kerneliiiiiiiiiiiiiiiiPKfS0_Pf.has_indirect_call, 0
	.section	.AMDGPU.csdata,"",@progbits
; Kernel info:
; codeLenInByte = 508
; TotalNumSgprs: 28
; NumVgprs: 9
; ScratchSize: 0
; MemoryBound: 0
; FloatMode: 240
; IeeeMode: 1
; LDSByteSize: 0 bytes/workgroup (compile time only)
; SGPRBlocks: 3
; VGPRBlocks: 2
; NumSGPRsForWavesPerEU: 28
; NumVGPRsForWavesPerEU: 9
; Occupancy: 10
; WaveLimiterHint : 0
; COMPUTE_PGM_RSRC2:SCRATCH_EN: 0
; COMPUTE_PGM_RSRC2:USER_SGPR: 6
; COMPUTE_PGM_RSRC2:TRAP_HANDLER: 0
; COMPUTE_PGM_RSRC2:TGID_X_EN: 1
; COMPUTE_PGM_RSRC2:TGID_Y_EN: 0
; COMPUTE_PGM_RSRC2:TGID_Z_EN: 0
; COMPUTE_PGM_RSRC2:TIDIG_COMP_CNT: 0
	.section	.AMDGPU.gpr_maximums,"",@progbits
	.set amdgpu.max_num_vgpr, 0
	.set amdgpu.max_num_agpr, 0
	.set amdgpu.max_num_sgpr, 0
	.section	.AMDGPU.csdata,"",@progbits
	.type	__hip_cuid_593332ac57d945a9,@object ; @__hip_cuid_593332ac57d945a9
	.section	.bss,"aw",@nobits
	.globl	__hip_cuid_593332ac57d945a9
__hip_cuid_593332ac57d945a9:
	.byte	0                               ; 0x0
	.size	__hip_cuid_593332ac57d945a9, 1

	.ident	"AMD clang version 22.0.0git (https://github.com/RadeonOpenCompute/llvm-project roc-7.2.4 26084 f58b06dce1f9c15707c5f808fd002e18c2accf7e)"
	.section	".note.GNU-stack","",@progbits
	.addrsig
	.addrsig_sym __hip_cuid_593332ac57d945a9
	.amdgpu_metadata
---
amdhsa.kernels:
  - .args:
      - .offset:         0
        .size:           4
        .value_kind:     by_value
      - .offset:         4
        .size:           4
        .value_kind:     by_value
      - .offset:         8
        .size:           4
        .value_kind:     by_value
      - .offset:         12
        .size:           4
        .value_kind:     by_value
      - .offset:         16
        .size:           4
        .value_kind:     by_value
      - .offset:         20
        .size:           4
        .value_kind:     by_value
      - .offset:         24
        .size:           4
        .value_kind:     by_value
      - .offset:         28
        .size:           4
        .value_kind:     by_value
      - .offset:         32
        .size:           4
        .value_kind:     by_value
      - .offset:         36
        .size:           4
        .value_kind:     by_value
      - .offset:         40
        .size:           4
        .value_kind:     by_value
      - .offset:         44
        .size:           4
        .value_kind:     by_value
      - .offset:         48
        .size:           4
        .value_kind:     by_value
      - .offset:         52
        .size:           4
        .value_kind:     by_value
      - .offset:         56
        .size:           4
        .value_kind:     by_value
      - .offset:         60
        .size:           4
        .value_kind:     by_value
      - .address_space:  global
        .offset:         64
        .size:           8
        .value_kind:     global_buffer
      - .address_space:  global
        .offset:         72
        .size:           8
        .value_kind:     global_buffer
      - .address_space:  global
        .offset:         80
        .size:           8
        .value_kind:     global_buffer
      - .offset:         88
        .size:           4
        .value_kind:     hidden_block_count_x
      - .offset:         92
        .size:           4
        .value_kind:     hidden_block_count_y
      - .offset:         96
        .size:           4
        .value_kind:     hidden_block_count_z
      - .offset:         100
        .size:           2
        .value_kind:     hidden_group_size_x
      - .offset:         102
        .size:           2
        .value_kind:     hidden_group_size_y
      - .offset:         104
        .size:           2
        .value_kind:     hidden_group_size_z
      - .offset:         106
        .size:           2
        .value_kind:     hidden_remainder_x
      - .offset:         108
        .size:           2
        .value_kind:     hidden_remainder_y
      - .offset:         110
        .size:           2
        .value_kind:     hidden_remainder_z
      - .offset:         128
        .size:           8
        .value_kind:     hidden_global_offset_x
      - .offset:         136
        .size:           8
        .value_kind:     hidden_global_offset_y
      - .offset:         144
        .size:           8
        .value_kind:     hidden_global_offset_z
      - .offset:         152
        .size:           2
        .value_kind:     hidden_grid_dims
    .group_segment_fixed_size: 0
    .kernarg_segment_align: 8
    .kernarg_segment_size: 344
    .language:       OpenCL C
    .language_version:
      - 2
      - 0
    .max_flat_workgroup_size: 1024
    .name:           _ZL24conv_transpose_1d_kerneliiiiiiiiiiiiiiiiPKfS0_Pf
    .private_segment_fixed_size: 0
    .sgpr_count:     28
    .sgpr_spill_count: 0
    .symbol:         _ZL24conv_transpose_1d_kerneliiiiiiiiiiiiiiiiPKfS0_Pf.kd
    .uniform_work_group_size: 1
    .uses_dynamic_stack: false
    .vgpr_count:     9
    .vgpr_spill_count: 0
    .wavefront_size: 64
amdhsa.target:   amdgcn-amd-amdhsa--gfx906
amdhsa.version:
  - 1
  - 2
...

	.end_amdgpu_metadata
